;; amdgpu-corpus repo=tuanlda78202/gpt-oss-amd kind=compiled arch=gfx906 opt=O3
	.amdgcn_target "amdgcn-amd-amdhsa--gfx906"
	.amdhsa_code_object_version 6
	.text
	.protected	_Z14rope_qk_kernelPfPviiiiiiiPKiiS2_xfffffPKxS2_S2_ ; -- Begin function _Z14rope_qk_kernelPfPviiiiiiiPKiiS2_xfffffPKxS2_S2_
	.globl	_Z14rope_qk_kernelPfPviiiiiiiPKiiS2_xfffffPKxS2_S2_
	.p2align	8
	.type	_Z14rope_qk_kernelPfPviiiiiiiPKiiS2_xfffffPKxS2_S2_,@function
_Z14rope_qk_kernelPfPviiiiiiiPKiiS2_xfffffPKxS2_S2_: ; @_Z14rope_qk_kernelPfPviiiiiiiPKiiS2_xfffffPKxS2_S2_
; %bb.0:
	s_load_dwordx4 s[24:27], s[4:5], 0x10
	s_load_dword s0, s[4:5], 0x8c
	s_waitcnt lgkmcnt(0)
	s_ashr_i32 s22, s27, 1
	s_and_b32 s0, s0, 0xffff
	s_mul_i32 s6, s6, s0
	v_add_u32_e32 v0, s6, v0
	s_cmp_lt_i32 s7, s24
	s_cselect_b64 s[0:1], -1, 0
	v_cmp_gt_i32_e32 vcc, s22, v0
	s_and_b64 s[0:1], s[0:1], vcc
	s_and_saveexec_b64 s[2:3], s[0:1]
	s_cbranch_execz .LBB0_20
; %bb.1:
	v_cvt_f32_i32_e32 v1, s27
	s_mov_b32 s44, 0x3f2aaaab
	s_mov_b32 s48, 0x3f317218
	;; [unrolled: 1-line block ×3, first 2 shown]
	v_div_scale_f32 v2, s[0:1], v1, v1, -2.0
	v_div_scale_f32 v3, vcc, -2.0, v1, -2.0
	s_load_dwordx2 s[0:1], s[4:5], 0x40
	s_load_dwordx2 s[2:3], s[4:5], 0x30
	s_load_dwordx4 s[28:31], s[4:5], 0x50
	s_ashr_i32 s37, s7, 31
	s_lshl_b64 s[6:7], s[36:37], 2
	s_movk_i32 s33, 0x204
	s_waitcnt lgkmcnt(0)
	s_add_u32 s2, s2, s6
	v_cmp_eq_f32_e64 s[38:39], s28, 1.0
	v_mov_b32_e32 v8, s28
	s_addc_u32 s3, s3, s7
	s_load_dword s24, s[2:3], 0x0
	s_mov_b32 s45, 0x42b17218
	s_add_u32 s34, s0, s6
	s_addc_u32 s35, s1, s7
	v_rcp_f32_e32 v4, v2
	s_mov_b32 s23, 0x7f800000
	s_mov_b32 s46, 0xc2ce8ed0
	v_cmp_ngt_f32_e64 s[50:51], s29, 1.0
	v_fma_f32 v5, -v2, v4, 1.0
	v_fmac_f32_e32 v4, v5, v4
	v_mul_f32_e32 v5, v3, v4
	v_fma_f32 v6, -v2, v5, v3
	v_fmac_f32_e32 v5, v6, v4
	v_fma_f32 v2, -v2, v5, v3
	v_div_fmas_f32 v4, v2, v4, v5
	v_cvt_f32_i32_e32 v6, v0
	v_mov_b32_e32 v5, 0x3e91f4c4
	v_mov_b32_e32 v2, 0x3ecccdef
	;; [unrolled: 1-line block ×3, first 2 shown]
	s_mov_b32 s47, 0x3fb8aa3b
	s_brev_b32 s37, -2
	v_div_fixup_f32 v4, v4, v1, -2.0
	v_mul_f32_e32 v4, v4, v6
	v_cndmask_b32_e64 v7, v4, 1.0, s[38:39]
	v_cmp_neq_f32_e32 vcc, 0, v7
	v_cndmask_b32_e32 v4, 1.0, v8, vcc
	v_frexp_mant_f32_e64 v8, |v4|
	v_cmp_gt_f32_e32 vcc, s44, v8
	v_cndmask_b32_e64 v9, 1.0, 2.0, vcc
	v_mul_f32_e32 v8, v8, v9
	v_add_f32_e32 v9, 1.0, v8
	v_rcp_f32_e32 v10, v9
	v_add_f32_e32 v11, -1.0, v8
	v_add_f32_e32 v12, -1.0, v9
	v_sub_f32_e32 v8, v8, v12
	v_mul_f32_e32 v12, v11, v10
	v_mul_f32_e32 v13, v9, v12
	v_fma_f32 v9, v12, v9, -v13
	v_fmac_f32_e32 v9, v12, v8
	v_add_f32_e32 v8, v13, v9
	v_sub_f32_e32 v14, v11, v8
	v_sub_f32_e32 v13, v8, v13
	v_sub_f32_e32 v11, v11, v14
	v_sub_f32_e32 v9, v13, v9
	v_sub_f32_e32 v8, v11, v8
	v_add_f32_e32 v8, v9, v8
	v_add_f32_e32 v8, v14, v8
	v_mul_f32_e32 v8, v10, v8
	v_add_f32_e32 v10, v12, v8
	v_sub_f32_e32 v9, v10, v12
	v_mul_f32_e32 v11, v10, v10
	v_sub_f32_e32 v12, v8, v9
	v_fma_f32 v8, v10, v10, -v11
	v_add_f32_e32 v9, v12, v12
	v_fmac_f32_e32 v8, v10, v9
	v_add_f32_e32 v9, v11, v8
	v_fmac_f32_e32 v5, 0x3e76c4e1, v9
	v_sub_f32_e32 v11, v9, v11
	v_mul_f32_e32 v13, v10, v9
	v_fma_f32 v5, v9, v5, v2
	v_sub_f32_e32 v8, v8, v11
	v_fma_f32 v11, v9, v10, -v13
	v_fmac_f32_e32 v11, v9, v12
	v_mul_f32_e32 v14, v9, v5
	v_fmac_f32_e32 v11, v8, v10
	v_fma_f32 v9, v9, v5, -v14
	v_add_f32_e32 v15, v13, v11
	v_fmac_f32_e32 v9, v8, v5
	v_sub_f32_e32 v5, v15, v13
	v_add_f32_e32 v13, v14, v9
	v_sub_f32_e32 v8, v13, v14
	v_sub_f32_e32 v14, v9, v8
	v_cvt_f64_f32_e64 v[8:9], |v4|
	v_sub_f32_e32 v5, v11, v5
	v_add_f32_e32 v11, 0x3f2aaaaa, v13
	v_add_f32_e32 v16, 0xbf2aaaaa, v11
	v_frexp_exp_i32_f64_e32 v8, v[8:9]
	v_add_f32_e32 v14, 0x31739010, v14
	v_sub_f32_e32 v13, v13, v16
	v_add_f32_e32 v9, v14, v13
	v_add_f32_e32 v13, v11, v9
	v_sub_f32_e32 v11, v11, v13
	v_add_f32_e32 v9, v9, v11
	v_mul_f32_e32 v11, v15, v13
	v_subbrev_co_u32_e32 v8, vcc, 0, v8, vcc
	v_cvt_f32_i32_e32 v8, v8
	v_fma_f32 v14, v15, v13, -v11
	v_fmac_f32_e32 v14, v15, v9
	v_fmac_f32_e32 v14, v5, v13
	v_mul_f32_e32 v5, 0x3f317218, v8
	v_fma_f32 v9, v8, s48, -v5
	v_fmac_f32_e32 v9, 0xb102e308, v8
	v_ldexp_f32 v8, v12, 1
	v_add_f32_e32 v12, v5, v9
	v_sub_f32_e32 v5, v12, v5
	v_ldexp_f32 v10, v10, 1
	v_sub_f32_e32 v5, v9, v5
	v_add_f32_e32 v9, v11, v14
	v_sub_f32_e32 v11, v9, v11
	v_add_f32_e32 v13, v10, v9
	v_sub_f32_e32 v11, v14, v11
	v_sub_f32_e32 v10, v13, v10
	;; [unrolled: 1-line block ×3, first 2 shown]
	v_add_f32_e32 v8, v8, v11
	v_add_f32_e32 v8, v8, v9
	;; [unrolled: 1-line block ×3, first 2 shown]
	v_sub_f32_e32 v10, v9, v13
	v_sub_f32_e32 v8, v8, v10
	v_add_f32_e32 v10, v12, v9
	v_sub_f32_e32 v11, v10, v12
	v_sub_f32_e32 v13, v10, v11
	;; [unrolled: 1-line block ×4, first 2 shown]
	v_add_f32_e32 v11, v5, v8
	v_add_f32_e32 v9, v9, v12
	v_sub_f32_e32 v12, v11, v5
	v_sub_f32_e32 v13, v11, v12
	v_sub_f32_e32 v5, v5, v13
	v_sub_f32_e32 v8, v8, v12
	v_add_f32_e32 v5, v8, v5
	v_add_f32_e32 v8, v11, v9
	;; [unrolled: 1-line block ×3, first 2 shown]
	v_sub_f32_e32 v10, v9, v10
	v_sub_f32_e32 v8, v8, v10
	v_add_f32_e32 v5, v5, v8
	v_add_f32_e32 v8, v9, v5
	v_sub_f32_e32 v9, v8, v9
	v_mul_f32_e32 v10, v7, v8
	v_sub_f32_e32 v5, v5, v9
	v_fma_f32 v8, v7, v8, -v10
	v_fmac_f32_e32 v8, v7, v5
	v_add_f32_e32 v11, v10, v8
	v_cmp_class_f32_e64 vcc, v10, s33
	v_cndmask_b32_e32 v12, v11, v10, vcc
	v_mov_b32_e32 v5, 0x37000000
	v_cmp_eq_f32_e32 vcc, s45, v12
	v_trunc_f32_e32 v13, v7
	v_cndmask_b32_e32 v9, 0, v5, vcc
	v_cmp_eq_f32_e64 s[6:7], v13, v7
	v_mul_f32_e32 v13, 0.5, v7
	v_cmp_neq_f32_e64 s[10:11], |v12|, s23
	v_sub_f32_e32 v12, v12, v9
	v_trunc_f32_e32 v14, v13
	v_cmp_ngt_f32_e64 s[18:19], s46, v12
	v_cmp_nlt_f32_e64 s[16:17], s45, v12
	v_cmp_neq_f32_e64 s[20:21], v14, v13
	v_cmp_gt_f32_e64 s[14:15], 0, v4
	v_cmp_neq_f32_e64 s[40:41], v7, |v7|
	v_cmp_lt_f32_e64 s[42:43], |v4|, 1.0
	v_cmp_neq_f32_e64 s[12:13], |v4|, 1.0
	v_cmp_eq_f32_e64 s[0:1], 0, v4
	v_cmp_gt_f32_e64 s[8:9], 0, v7
	v_cmp_o_f32_e64 s[2:3], v4, v7
	s_and_b64 vcc, exec, s[50:51]
	s_cbranch_vccnz .LBB0_3
; %bb.2:
	v_mov_b32_e32 v8, 0x40c90fdb
	v_mul_f32_e32 v9, s31, v8
	v_div_scale_f32 v10, s[0:1], v9, v9, s30
	v_div_scale_f32 v11, vcc, s30, v9, s30
	v_mov_b32_e32 v12, 0x800000
	v_mov_b32_e32 v13, 0x41b17218
	v_cmp_lt_f32_e64 s[0:1], s29, v12
	v_cndmask_b32_e64 v4, 0, v13, s[0:1]
	v_cmp_lt_f32_e64 s[2:3], s28, v12
	s_and_b64 s[0:1], s[0:1], exec
	s_cselect_b32 s7, 32, 0
	s_and_b64 s[0:1], s[2:3], exec
	s_cselect_b32 s0, 32, 0
	s_mov_b32 s9, 0x800000
	v_cndmask_b32_e64 v12, 0, v13, s[2:3]
	s_mov_b32 s6, 0x3f317217
	v_rcp_f32_e32 v14, v10
	s_load_dword s8, s[4:5], 0x60
	v_cvt_f32_i32_e32 v7, s22
	v_fma_f32 v15, -v10, v14, 1.0
	v_fmac_f32_e32 v14, v15, v14
	v_mul_f32_e32 v15, v11, v14
	v_fma_f32 v16, -v10, v15, v11
	v_fmac_f32_e32 v15, v16, v14
	v_fma_f32 v10, -v10, v15, v11
	v_div_fmas_f32 v10, v10, v14, v15
	v_mov_b32_e32 v11, s0
	v_ldexp_f32 v11, s28, v11
	v_log_f32_e32 v11, v11
	s_waitcnt lgkmcnt(0)
	v_mul_f32_e32 v8, s8, v8
	v_div_scale_f32 v14, s[0:1], v8, v8, s30
	v_mul_f32_e32 v16, 0x3f317217, v11
	v_fma_f32 v16, v11, s6, -v16
	v_fmac_f32_e32 v16, 0x3377d1cf, v11
	v_fmac_f32_e32 v16, 0x3f317217, v11
	v_div_scale_f32 v15, s[0:1], s30, v8, s30
	v_div_fixup_f32 v9, v10, v9, s30
	v_cmp_gt_f32_e32 vcc, s9, v9
	s_and_b64 s[2:3], vcc, exec
	s_cselect_b32 s2, 32, 0
	v_ldexp_f32 v9, v9, s2
	v_log_f32_e32 v9, v9
	v_cndmask_b32_e32 v10, 0, v13, vcc
	v_cmp_lt_f32_e64 vcc, |v11|, s23
	v_cndmask_b32_e32 v11, v11, v16, vcc
	v_sub_f32_e32 v11, v11, v12
	v_mul_f32_e32 v12, 0x3f317217, v9
	v_fma_f32 v12, v9, s6, -v12
	v_fmac_f32_e32 v12, 0x3377d1cf, v9
	v_fmac_f32_e32 v12, 0x3f317217, v9
	v_cmp_lt_f32_e64 vcc, |v9|, s23
	v_cndmask_b32_e32 v9, v9, v12, vcc
	v_sub_f32_e32 v9, v9, v10
	v_mul_f32_e32 v10, v9, v7
	v_div_scale_f32 v9, s[2:3], v11, v11, v10
	v_div_scale_f32 v12, vcc, v10, v11, v10
	v_rcp_f32_e32 v16, v14
	v_fma_f32 v17, -v14, v16, 1.0
	v_fmac_f32_e32 v16, v17, v16
	v_mul_f32_e32 v17, v15, v16
	v_fma_f32 v19, -v14, v17, v15
	v_fmac_f32_e32 v17, v19, v16
	v_fma_f32 v14, -v14, v17, v15
	v_rcp_f32_e32 v18, v9
	v_fma_f32 v15, -v9, v18, 1.0
	v_fmac_f32_e32 v18, v15, v18
	v_mul_f32_e32 v15, v12, v18
	v_fma_f32 v19, -v9, v15, v12
	v_fmac_f32_e32 v15, v19, v18
	v_fma_f32 v9, -v9, v15, v12
	v_div_fmas_f32 v12, v9, v18, v15
	s_mov_b64 vcc, s[0:1]
	v_div_fmas_f32 v9, v14, v16, v17
	v_div_fixup_f32 v10, v12, v11, v10
	v_div_fixup_f32 v8, v9, v8, s30
	v_cmp_gt_f32_e32 vcc, s9, v8
	s_and_b64 s[0:1], vcc, exec
	s_cselect_b32 s0, 32, 0
	v_ldexp_f32 v8, v8, s0
	v_log_f32_e32 v8, v8
	v_cndmask_b32_e32 v9, 0, v13, vcc
	v_mul_f32_e32 v13, 0x3f317217, v8
	v_fma_f32 v13, v8, s6, -v13
	v_fmac_f32_e32 v13, 0x3377d1cf, v8
	v_fmac_f32_e32 v13, 0x3f317217, v8
	v_cmp_lt_f32_e64 vcc, |v8|, s23
	v_cndmask_b32_e32 v8, v8, v13, vcc
	v_sub_f32_e32 v8, v8, v9
	v_mul_f32_e32 v7, v8, v7
	v_div_scale_f32 v8, s[0:1], v11, v11, v7
	v_div_scale_f32 v9, vcc, v7, v11, v7
	v_rcp_f32_e32 v13, v8
	v_fma_f32 v14, -v8, v13, 1.0
	v_fmac_f32_e32 v13, v14, v13
	v_mul_f32_e32 v14, v9, v13
	v_fma_f32 v15, -v8, v14, v9
	v_fmac_f32_e32 v14, v15, v13
	v_fma_f32 v8, -v8, v14, v9
	v_div_fmas_f32 v8, v8, v13, v14
	v_add_f32_e32 v9, v6, v6
	v_div_scale_f32 v13, s[0:1], v1, v1, v9
	v_sub_f32_e32 v6, v6, v10
	v_div_scale_f32 v14, s[0:1], v9, v1, v9
	v_div_fixup_f32 v7, v8, v11, v7
	v_sub_f32_e32 v7, v7, v10
	v_div_scale_f32 v8, s[2:3], v7, v7, v6
	v_div_scale_f32 v10, vcc, v6, v7, v6
	v_rcp_f32_e32 v11, v13
	v_fma_f32 v12, -v13, v11, 1.0
	v_fmac_f32_e32 v11, v12, v11
	v_mul_f32_e32 v12, v14, v11
	v_fma_f32 v16, -v13, v12, v14
	v_fmac_f32_e32 v12, v16, v11
	v_fma_f32 v13, -v13, v12, v14
	v_rcp_f32_e32 v15, v8
	v_fma_f32 v14, -v8, v15, 1.0
	v_fmac_f32_e32 v15, v14, v15
	v_mul_f32_e32 v14, v10, v15
	v_fma_f32 v16, -v8, v14, v10
	v_fmac_f32_e32 v14, v16, v15
	v_fma_f32 v8, -v8, v14, v10
	v_div_fmas_f32 v8, v8, v15, v14
	s_mov_b64 vcc, s[0:1]
	v_div_fmas_f32 v12, v13, v11, v12
	v_mov_b32_e32 v13, s28
	v_mov_b32_e32 v10, 0x7f800000
	;; [unrolled: 1-line block ×3, first 2 shown]
	v_div_fixup_f32 v1, v12, v1, v9
	v_cndmask_b32_e64 v1, v1, 1.0, s[38:39]
	v_cmp_neq_f32_e32 vcc, 0, v1
	v_cndmask_b32_e32 v9, 1.0, v13, vcc
	v_frexp_mant_f32_e64 v16, |v9|
	v_trunc_f32_e32 v14, v1
	v_mul_f32_e32 v15, 0.5, v1
	v_cmp_gt_f32_e64 s[2:3], s44, v16
	v_cvt_f64_f32_e64 v[12:13], |v9|
	v_cmp_eq_f32_e32 vcc, v14, v1
	v_trunc_f32_e32 v14, v15
	v_cndmask_b32_e64 v17, 1.0, 2.0, s[2:3]
	v_cmp_neq_f32_e64 s[0:1], v14, v15
	v_mul_f32_e32 v14, v16, v17
	v_add_f32_e32 v16, 1.0, v14
	v_rcp_f32_e32 v17, v16
	v_frexp_exp_i32_f64_e32 v12, v[12:13]
	v_add_f32_e32 v15, -1.0, v14
	v_add_f32_e32 v18, -1.0, v16
	v_sub_f32_e32 v13, v14, v18
	v_mul_f32_e32 v14, v15, v17
	v_mul_f32_e32 v18, v16, v14
	v_fma_f32 v16, v14, v16, -v18
	v_fmac_f32_e32 v16, v14, v13
	v_add_f32_e32 v13, v18, v16
	v_subbrev_co_u32_e64 v12, s[2:3], 0, v12, s[2:3]
	v_sub_f32_e32 v19, v15, v13
	v_sub_f32_e32 v18, v13, v18
	v_cvt_f32_i32_e32 v12, v12
	v_sub_f32_e32 v15, v15, v19
	v_sub_f32_e32 v16, v18, v16
	;; [unrolled: 1-line block ×3, first 2 shown]
	v_add_f32_e32 v13, v16, v13
	v_add_f32_e32 v13, v19, v13
	v_mul_f32_e32 v15, 0x3f317218, v12
	v_mul_f32_e32 v13, v17, v13
	v_fma_f32 v16, v12, s48, -v15
	v_add_f32_e32 v17, v14, v13
	v_fmac_f32_e32 v16, 0xb102e308, v12
	v_sub_f32_e32 v12, v17, v14
	v_mul_f32_e32 v14, v17, v17
	v_sub_f32_e32 v12, v13, v12
	v_fma_f32 v13, v17, v17, -v14
	v_add_f32_e32 v20, v12, v12
	v_fmac_f32_e32 v13, v17, v20
	v_add_f32_e32 v20, v14, v13
	v_fmac_f32_e32 v3, 0x3e76c4e1, v20
	v_add_f32_e32 v19, v15, v16
	v_sub_f32_e32 v14, v20, v14
	v_fmac_f32_e32 v2, v20, v3
	v_mul_f32_e32 v3, v17, v20
	v_sub_f32_e32 v15, v19, v15
	v_sub_f32_e32 v13, v13, v14
	v_fma_f32 v14, v20, v17, -v3
	v_sub_f32_e32 v15, v16, v15
	v_ldexp_f32 v16, v12, 1
	v_fmac_f32_e32 v14, v20, v12
	v_mul_f32_e32 v12, v20, v2
	v_ldexp_f32 v18, v17, 1
	v_fmac_f32_e32 v14, v13, v17
	v_fma_f32 v17, v20, v2, -v12
	v_add_f32_e32 v20, v3, v14
	v_fmac_f32_e32 v17, v13, v2
	v_sub_f32_e32 v2, v20, v3
	v_add_f32_e32 v3, v12, v17
	v_add_f32_e32 v13, 0x3f2aaaaa, v3
	v_sub_f32_e32 v12, v3, v12
	v_sub_f32_e32 v2, v14, v2
	;; [unrolled: 1-line block ×3, first 2 shown]
	v_add_f32_e32 v14, 0xbf2aaaaa, v13
	v_add_f32_e32 v12, 0x31739010, v12
	v_sub_f32_e32 v3, v3, v14
	v_add_f32_e32 v3, v12, v3
	v_add_f32_e32 v12, v13, v3
	v_sub_f32_e32 v13, v13, v12
	v_mul_f32_e32 v14, v20, v12
	v_add_f32_e32 v3, v3, v13
	v_fma_f32 v13, v20, v12, -v14
	v_fmac_f32_e32 v13, v20, v3
	v_fmac_f32_e32 v13, v2, v12
	v_add_f32_e32 v2, v14, v13
	v_sub_f32_e32 v3, v2, v14
	v_add_f32_e32 v12, v18, v2
	v_sub_f32_e32 v3, v13, v3
	v_sub_f32_e32 v13, v12, v18
	;; [unrolled: 1-line block ×3, first 2 shown]
	v_add_f32_e32 v3, v16, v3
	v_add_f32_e32 v2, v3, v2
	;; [unrolled: 1-line block ×3, first 2 shown]
	v_sub_f32_e32 v12, v3, v12
	v_add_f32_e32 v13, v19, v3
	v_sub_f32_e32 v2, v2, v12
	v_sub_f32_e32 v12, v13, v19
	;; [unrolled: 1-line block ×5, first 2 shown]
	v_add_f32_e32 v12, v15, v2
	v_add_f32_e32 v3, v3, v14
	v_sub_f32_e32 v16, v12, v15
	v_add_f32_e32 v3, v12, v3
	v_sub_f32_e32 v14, v12, v16
	;; [unrolled: 2-line block ×3, first 2 shown]
	v_sub_f32_e32 v14, v15, v14
	v_sub_f32_e32 v13, v12, v13
	v_add_f32_e32 v2, v2, v14
	v_sub_f32_e32 v3, v3, v13
	v_add_f32_e32 v2, v2, v3
	v_add_f32_e32 v3, v12, v2
	v_sub_f32_e32 v12, v3, v12
	v_mul_f32_e32 v13, v1, v3
	v_sub_f32_e32 v2, v2, v12
	v_fma_f32 v3, v1, v3, -v13
	v_fmac_f32_e32 v3, v1, v2
	v_add_f32_e32 v2, v13, v3
	v_cmp_class_f32_e64 s[2:3], v13, s33
	v_sub_f32_e32 v12, v2, v13
	v_cndmask_b32_e64 v2, v2, v13, s[2:3]
	v_cmp_eq_f32_e64 s[2:3], s45, v2
	v_cndmask_b32_e64 v5, 0, v5, s[2:3]
	v_sub_f32_e32 v3, v3, v12
	v_sub_f32_e32 v12, v2, v5
	v_mul_f32_e32 v13, 0x3fb8aa3b, v12
	v_fma_f32 v14, v12, s47, -v13
	v_rndne_f32_e32 v15, v13
	v_fmac_f32_e32 v14, 0x32a5705f, v12
	v_sub_f32_e32 v13, v13, v15
	v_add_f32_e32 v13, v13, v14
	v_cvt_i32_f32_e32 v15, v15
	v_exp_f32_e32 v13, v13
	v_cmp_neq_f32_e64 s[2:3], |v2|, s23
	v_cndmask_b32_e64 v2, 0, v3, s[2:3]
	v_cmp_ngt_f32_e64 s[2:3], s46, v12
	v_ldexp_f32 v3, v13, v15
	v_cndmask_b32_e64 v3, 0, v3, s[2:3]
	v_cmp_nlt_f32_e64 s[2:3], s45, v12
	v_add_f32_e32 v2, v5, v2
	v_cndmask_b32_e64 v3, v10, v3, s[2:3]
	v_fma_f32 v2, v3, v2, v3
	v_cmp_class_f32_e64 s[2:3], v3, s33
	s_and_b64 s[0:1], vcc, s[0:1]
	v_cndmask_b32_e64 v2, v2, v3, s[2:3]
	v_cndmask_b32_e64 v3, 1.0, v9, s[0:1]
	v_bfi_b32 v2, s37, v2, v3
	v_cmp_neq_f32_e64 s[2:3], v1, |v1|
	v_cmp_lt_f32_e64 s[8:9], |v9|, 1.0
	v_cndmask_b32_e32 v3, v11, v2, vcc
	v_cmp_gt_f32_e32 vcc, 0, v9
	s_xor_b64 s[2:3], s[2:3], s[8:9]
	v_cndmask_b32_e32 v2, v2, v3, vcc
	v_cndmask_b32_e64 v3, v10, 0, s[2:3]
	v_cmp_neq_f32_e64 vcc, |v9|, 1.0
	v_cndmask_b32_e32 v3, 1.0, v3, vcc
	v_cmp_class_f32_e64 vcc, v1, s33
	v_cndmask_b32_e32 v2, v2, v3, vcc
	v_cmp_eq_f32_e32 vcc, 0, v9
	v_cmp_gt_f32_e64 s[2:3], 0, v1
	s_xor_b64 s[2:3], s[2:3], vcc
	v_cmp_class_f32_e64 s[8:9], v9, s33
	v_cndmask_b32_e64 v3, v10, 0, s[2:3]
	v_cndmask_b32_e64 v5, 0, v9, s[0:1]
	v_bfi_b32 v3, s37, v3, v5
	s_or_b64 vcc, vcc, s[8:9]
	v_cndmask_b32_e32 v2, v2, v3, vcc
	v_cmp_o_f32_e32 vcc, v9, v1
	v_cndmask_b32_e32 v2, v11, v2, vcc
	v_mul_f32_e32 v3, s29, v2
	v_div_scale_f32 v1, s[0:1], v3, v3, 1.0
	v_div_scale_f32 v5, vcc, 1.0, v3, 1.0
	v_div_scale_f32 v9, s[0:1], v2, v2, 1.0
	v_div_scale_f32 v10, s[0:1], 1.0, v2, 1.0
	v_mov_b32_e32 v12, s7
	v_ldexp_f32 v12, s29, v12
	v_rcp_f32_e32 v11, v1
	v_fma_f32 v13, -v1, v11, 1.0
	v_fmac_f32_e32 v11, v13, v11
	v_mul_f32_e32 v13, v5, v11
	v_fma_f32 v14, -v1, v13, v5
	v_fmac_f32_e32 v13, v14, v11
	v_rcp_f32_e32 v14, v9
	v_fma_f32 v1, -v1, v13, v5
	v_div_fmas_f32 v5, v1, v11, v13
	s_mov_b64 vcc, s[0:1]
	v_fma_f32 v1, -v9, v14, 1.0
	v_fmac_f32_e32 v14, v1, v14
	v_mul_f32_e32 v1, v10, v14
	v_fma_f32 v11, -v9, v1, v10
	v_fmac_f32_e32 v1, v11, v14
	v_fma_f32 v9, -v9, v1, v10
	v_div_fmas_f32 v9, v9, v14, v1
	v_log_f32_e32 v1, v12
	s_mov_b32 s0, 0x3dcccccd
	v_mul_f32_e32 v10, 0x3f317217, v1
	v_fma_f32 v10, v1, s6, -v10
	v_fmac_f32_e32 v10, 0x3377d1cf, v1
	v_fmac_f32_e32 v10, 0x3f317217, v1
	v_cmp_lt_f32_e64 vcc, |v1|, s23
	v_cndmask_b32_e32 v1, v1, v10, vcc
	v_sub_f32_e32 v1, v1, v4
	v_div_fixup_f32 v4, v8, v7, v6 clamp
	v_div_fixup_f32 v3, v5, v3, 1.0
	v_fma_f32 v1, v1, s0, 1.0
	v_div_fixup_f32 v5, v9, v2, 1.0
	v_mul_f32_e32 v2, v4, v3
	v_sub_f32_e32 v3, 1.0, v4
	v_fmac_f32_e32 v2, v3, v5
	s_branch .LBB0_4
.LBB0_3:
	v_mul_f32_e32 v2, 0x3fb8aa3b, v12
	v_fma_f32 v3, v12, s47, -v2
	v_rndne_f32_e32 v5, v2
	v_fmac_f32_e32 v3, 0x32a5705f, v12
	v_sub_f32_e32 v2, v2, v5
	v_add_f32_e32 v2, v2, v3
	v_exp_f32_e32 v2, v2
	v_cvt_i32_f32_e32 v3, v5
	v_sub_f32_e32 v1, v11, v10
	v_sub_f32_e32 v1, v8, v1
	v_cndmask_b32_e64 v1, 0, v1, s[10:11]
	v_ldexp_f32 v2, v2, v3
	v_cndmask_b32_e64 v2, 0, v2, s[18:19]
	v_mov_b32_e32 v3, 0x7f800000
	v_add_f32_e32 v1, v9, v1
	v_cndmask_b32_e64 v2, v3, v2, s[16:17]
	v_fma_f32 v1, v2, v1, v2
	v_cmp_class_f32_e64 vcc, v2, s33
	v_cndmask_b32_e32 v1, v1, v2, vcc
	s_and_b64 vcc, s[6:7], s[20:21]
	v_cndmask_b32_e32 v2, 1.0, v4, vcc
	v_bfi_b32 v1, s37, v1, v2
	v_mov_b32_e32 v2, 0x7fc00000
	v_cndmask_b32_e64 v5, v2, v1, s[6:7]
	s_xor_b64 s[6:7], s[40:41], s[42:43]
	v_cndmask_b32_e64 v1, v1, v5, s[14:15]
	v_cndmask_b32_e64 v5, v3, 0, s[6:7]
	v_cndmask_b32_e64 v5, 1.0, v5, s[12:13]
	v_cmp_class_f32_e64 s[6:7], v7, s33
	s_xor_b64 s[8:9], s[8:9], s[0:1]
	v_cndmask_b32_e64 v1, v1, v5, s[6:7]
	v_cmp_class_f32_e64 s[6:7], v4, s33
	v_cndmask_b32_e64 v3, v3, 0, s[8:9]
	v_cndmask_b32_e32 v4, 0, v4, vcc
	v_bfi_b32 v3, s37, v3, v4
	s_or_b64 vcc, s[0:1], s[6:7]
	v_cndmask_b32_e32 v1, v1, v3, vcc
	v_cndmask_b32_e64 v2, v2, v1, s[2:3]
	v_mov_b32_e32 v1, 1.0
.LBB0_4:
	s_waitcnt lgkmcnt(0)
	v_cvt_f32_i32_e32 v3, s24
	s_brev_b32 s0, 18
                                        ; implicit-def: $vgpr5
                                        ; implicit-def: $vgpr4
	v_mul_f32_e32 v2, v2, v3
	v_and_b32_e32 v3, 0x7fffffff, v2
	v_cmp_nlt_f32_e64 s[0:1], |v2|, s0
	s_and_saveexec_b64 s[2:3], s[0:1]
	s_xor_b64 s[8:9], exec, s[2:3]
	s_cbranch_execz .LBB0_6
; %bb.5:
	v_and_b32_e32 v4, 0x7fffff, v3
	v_or_b32_e32 v13, 0x800000, v4
	s_mov_b32 s0, 0xfe5163ab
	v_mad_u64_u32 v[4:5], s[0:1], v13, s0, 0
	v_mov_b32_e32 v6, 0
	s_mov_b32 s0, 0x3c439041
	v_mad_u64_u32 v[7:8], s[0:1], v13, s0, v[5:6]
	s_mov_b32 s0, 0xdb629599
	v_not_b32_e32 v12, 63
	v_mov_b32_e32 v5, v8
	v_mad_u64_u32 v[8:9], s[0:1], v13, s0, v[5:6]
	s_mov_b32 s0, 0xf534ddc0
	v_not_b32_e32 v15, 31
	v_mov_b32_e32 v5, v9
	v_mad_u64_u32 v[9:10], s[0:1], v13, s0, v[5:6]
	v_lshrrev_b32_e32 v5, 23, v3
	v_add_u32_e32 v14, 0xffffff88, v5
	v_mov_b32_e32 v5, v10
	s_mov_b32 s0, 0xfc2757d1
	v_mad_u64_u32 v[10:11], s[0:1], v13, s0, v[5:6]
	v_cmp_lt_u32_e32 vcc, 63, v14
	v_cndmask_b32_e32 v5, 0, v12, vcc
	v_add_u32_e32 v14, v5, v14
	v_mov_b32_e32 v5, v11
	s_mov_b32 s0, 0x4e441529
	v_mad_u64_u32 v[11:12], s[0:1], v13, s0, v[5:6]
	v_cmp_lt_u32_e64 s[0:1], 31, v14
	v_cndmask_b32_e64 v5, 0, v15, s[0:1]
	v_add_u32_e32 v14, v5, v14
	v_mov_b32_e32 v5, v12
	s_mov_b32 s2, 0xa2f9836e
	v_mad_u64_u32 v[5:6], s[2:3], v13, s2, v[5:6]
	v_cmp_lt_u32_e64 s[2:3], 31, v14
	v_cndmask_b32_e64 v12, 0, v15, s[2:3]
	v_cndmask_b32_e32 v13, v11, v9, vcc
	v_cndmask_b32_e32 v5, v5, v10, vcc
	;; [unrolled: 1-line block ×3, first 2 shown]
	v_add_u32_e32 v12, v12, v14
	v_cndmask_b32_e64 v14, v5, v13, s[0:1]
	v_cndmask_b32_e64 v5, v6, v5, s[0:1]
	v_cndmask_b32_e32 v6, v10, v8, vcc
	v_cndmask_b32_e64 v10, v13, v6, s[0:1]
	v_cndmask_b32_e32 v7, v9, v7, vcc
	v_cndmask_b32_e64 v5, v5, v14, s[2:3]
	v_cndmask_b32_e64 v11, v14, v10, s[2:3]
	v_sub_u32_e32 v13, 32, v12
	v_cndmask_b32_e64 v6, v6, v7, s[0:1]
	v_alignbit_b32 v14, v5, v11, v13
	v_cmp_eq_u32_e64 s[6:7], 0, v12
	v_cndmask_b32_e64 v9, v10, v6, s[2:3]
	v_cndmask_b32_e64 v5, v14, v5, s[6:7]
	v_alignbit_b32 v10, v11, v9, v13
	v_cndmask_b32_e32 v4, v8, v4, vcc
	v_cndmask_b32_e64 v10, v10, v11, s[6:7]
	v_bfe_u32 v14, v5, 29, 1
	v_cndmask_b32_e64 v4, v7, v4, s[0:1]
	v_alignbit_b32 v11, v5, v10, 30
	v_sub_u32_e32 v15, 0, v14
	v_cndmask_b32_e64 v4, v6, v4, s[2:3]
	v_xor_b32_e32 v11, v11, v15
	v_alignbit_b32 v6, v9, v4, v13
	v_cndmask_b32_e64 v6, v6, v9, s[6:7]
	v_ffbh_u32_e32 v8, v11
	v_alignbit_b32 v7, v10, v6, 30
	v_min_u32_e32 v8, 32, v8
	v_alignbit_b32 v4, v6, v4, 30
	v_xor_b32_e32 v7, v7, v15
	v_sub_u32_e32 v9, 31, v8
	v_xor_b32_e32 v4, v4, v15
	v_alignbit_b32 v10, v11, v7, v9
	v_alignbit_b32 v4, v7, v4, v9
	;; [unrolled: 1-line block ×3, first 2 shown]
	v_ffbh_u32_e32 v7, v6
	v_min_u32_e32 v7, 32, v7
	v_lshrrev_b32_e32 v12, 29, v5
	v_not_b32_e32 v9, v7
	v_alignbit_b32 v4, v6, v4, v9
	v_lshlrev_b32_e32 v6, 31, v12
	v_or_b32_e32 v9, 0x33000000, v6
	v_add_lshl_u32 v7, v7, v8, 23
	v_lshrrev_b32_e32 v4, 9, v4
	v_sub_u32_e32 v7, v9, v7
	v_or_b32_e32 v6, 0.5, v6
	v_lshlrev_b32_e32 v8, 23, v8
	v_or_b32_e32 v4, v7, v4
	v_lshrrev_b32_e32 v7, 9, v10
	v_sub_u32_e32 v6, v6, v8
	v_or_b32_e32 v6, v7, v6
	s_mov_b32 s0, 0x3fc90fda
	v_mul_f32_e32 v7, 0x3fc90fda, v6
	v_fma_f32 v8, v6, s0, -v7
	v_fmac_f32_e32 v8, 0x33a22168, v6
	v_fmac_f32_e32 v8, 0x3fc90fda, v4
	v_lshrrev_b32_e32 v5, 30, v5
	v_add_f32_e32 v4, v7, v8
	v_add_u32_e32 v5, v14, v5
.LBB0_6:
	s_or_saveexec_b64 s[8:9], s[8:9]
	s_load_dwordx2 s[6:7], s[4:5], 0x78
	s_load_dwordx4 s[0:3], s[4:5], 0x68
	s_xor_b64 exec, exec, s[8:9]
	s_cbranch_execz .LBB0_8
; %bb.7:
	s_mov_b32 s10, 0x3f22f983
	v_mul_f32_e64 v4, |v2|, s10
	v_rndne_f32_e32 v6, v4
	s_mov_b32 s10, 0xbfc90fda
	v_cvt_i32_f32_e32 v5, v6
	v_fma_f32 v4, v6, s10, |v2|
	v_fmac_f32_e32 v4, 0xb3a22168, v6
	v_fmac_f32_e32 v4, 0xa7c234c4, v6
.LBB0_8:
	s_or_b64 exec, exec, s[8:9]
	v_mul_f32_e32 v6, v4, v4
	v_mov_b32_e32 v7, 0x3c0881c4
	v_fmac_f32_e32 v7, 0xb94c1982, v6
	v_mov_b32_e32 v8, 0xbe2aaa9d
	v_fmac_f32_e32 v8, v6, v7
	v_mul_f32_e32 v7, v6, v8
	v_fmac_f32_e32 v4, v4, v7
	v_mov_b32_e32 v7, 0xbab64f3b
	v_fmac_f32_e32 v7, 0x37d75334, v6
	v_mov_b32_e32 v8, 0x3d2aabf7
	;; [unrolled: 2-line block ×3, first 2 shown]
	v_fmac_f32_e32 v7, v6, v8
	v_fma_f32 v6, v6, v7, 1.0
	v_lshlrev_b32_e32 v7, 30, v5
	v_and_b32_e32 v5, 1, v5
	v_cmp_eq_u32_e32 vcc, 0, v5
	v_cndmask_b32_e32 v5, v6, v4, vcc
	v_xor_b32_e32 v3, v3, v2
	v_xor_b32_e32 v4, 0x80000000, v4
	v_and_b32_e32 v7, 0x80000000, v7
	v_xor_b32_e32 v3, v3, v5
	v_cndmask_b32_e32 v4, v4, v6, vcc
	s_movk_i32 s8, 0x1f8
	v_xor_b32_e32 v3, v3, v7
	v_xor_b32_e32 v4, v4, v7
	v_mov_b32_e32 v5, 0x7fc00000
	v_cmp_class_f32_e64 vcc, v2, s8
	v_cndmask_b32_e32 v2, v5, v4, vcc
	v_cndmask_b32_e32 v3, v5, v3, vcc
	v_mul_f32_e32 v4, v1, v2
	v_mul_f32_e32 v5, v1, v3
	s_cmp_lt_i32 s25, 1
	v_ashrrev_i32_e32 v1, 31, v0
	s_cbranch_scc1 .LBB0_11
; %bb.9:
	s_load_dwordx2 s[8:9], s[4:5], 0x0
	s_mul_i32 s10, s27, s25
	s_mul_hi_i32 s11, s10, s36
	s_mul_i32 s10, s10, s36
	s_lshl_b64 s[10:11], s[10:11], 2
	s_waitcnt lgkmcnt(0)
	s_add_u32 s10, s8, s10
	v_lshlrev_b64 v[2:3], 2, v[0:1]
	s_addc_u32 s11, s9, s11
	s_ashr_i32 s9, s27, 31
	s_mov_b32 s8, s27
	s_ashr_i32 s23, s22, 31
	v_mov_b32_e32 v6, s11
	v_add_co_u32_e32 v2, vcc, s10, v2
	s_lshl_b64 s[8:9], s[8:9], 2
	s_lshl_b64 s[10:11], s[22:23], 2
	v_addc_co_u32_e32 v3, vcc, v6, v3, vcc
	v_mov_b32_e32 v6, s11
	v_mov_b32_e32 v7, s9
.LBB0_10:                               ; =>This Inner Loop Header: Depth=1
	v_add_co_u32_e32 v8, vcc, s10, v2
	v_addc_co_u32_e32 v9, vcc, v3, v6, vcc
	global_load_dword v10, v[2:3], off
	global_load_dword v11, v[8:9], off
	s_add_i32 s25, s25, -1
	s_cmp_eq_u32 s25, 0
	s_waitcnt vmcnt(1)
	v_mul_f32_e32 v12, v4, v10
	s_waitcnt vmcnt(0)
	v_fma_f32 v12, -v11, v5, v12
	v_mul_f32_e32 v11, v4, v11
	global_store_dword v[2:3], v12, off
	v_add_co_u32_e32 v2, vcc, s8, v2
	v_fmac_f32_e32 v11, v10, v5
	v_addc_co_u32_e32 v3, vcc, v3, v7, vcc
	global_store_dword v[8:9], v11, off
	s_cbranch_scc0 .LBB0_10
.LBB0_11:
	s_load_dwordx2 s[8:9], s[4:5], 0x24
	s_waitcnt lgkmcnt(0)
	s_ashr_i32 s11, s9, 31
	s_mov_b32 s10, s9
	s_lshl_b64 s[12:13], s[10:11], 3
	s_add_u32 s0, s0, s12
	s_addc_u32 s1, s1, s13
	s_lshl_b64 s[10:11], s[10:11], 2
	s_add_u32 s12, s2, s10
	s_addc_u32 s13, s3, s11
	s_add_u32 s6, s6, s10
	s_addc_u32 s7, s7, s11
	s_load_dword s3, s[6:7], 0x0
	s_load_dword s2, s[12:13], 0x0
	s_waitcnt lgkmcnt(0)
	s_cmp_lg_u32 s3, 0
	s_cbranch_scc0 .LBB0_13
; %bb.12:
	s_abs_i32 s3, s2
	v_cvt_f32_u32_e32 v2, s3
	s_sub_i32 s9, 0, s3
	s_abs_i32 s7, s24
	s_ashr_i32 s6, s24, 31
	v_rcp_iflag_f32_e32 v2, v2
	v_mul_f32_e32 v2, 0x4f7ffffe, v2
	v_cvt_u32_f32_e32 v2, v2
	v_readfirstlane_b32 s10, v2
	s_mul_i32 s9, s9, s10
	s_mul_hi_u32 s9, s10, s9
	s_add_i32 s10, s10, s9
	s_mul_hi_u32 s9, s7, s10
	s_mul_i32 s9, s9, s3
	s_sub_i32 s7, s7, s9
	s_sub_i32 s9, s7, s3
	s_cmp_ge_u32 s7, s3
	s_cselect_b32 s7, s9, s7
	s_sub_i32 s9, s7, s3
	s_cmp_ge_u32 s7, s3
	s_cselect_b32 s3, s9, s7
	s_xor_b32 s3, s3, s6
	s_sub_i32 s24, s3, s6
.LBB0_13:
	s_cmp_lt_i32 s26, 1
	s_cbranch_scc1 .LBB0_20
; %bb.14:
	s_load_dword s9, s[4:5], 0x38
	s_load_dwordx2 s[6:7], s[4:5], 0x8
	s_load_dword s3, s[34:35], 0x0
	s_load_dwordx2 s[10:11], s[0:1], 0x0
	v_lshlrev_b64 v[2:3], 1, v[0:1]
	s_waitcnt lgkmcnt(0)
	s_cmp_lg_u32 s9, 0
	s_cselect_b64 s[0:1], -1, 0
	s_ashr_i32 s4, s8, 31
	s_mul_hi_i32 s5, s2, s3
	s_mul_i32 s2, s2, s3
	s_ashr_i32 s3, s24, 31
	s_add_u32 s2, s2, s24
	s_addc_u32 s3, s5, s3
	s_mul_i32 s4, s2, s4
	s_mul_hi_u32 s5, s2, s8
	s_add_i32 s4, s5, s4
	s_mul_i32 s3, s3, s8
	s_add_i32 s4, s4, s3
	s_mul_i32 s2, s2, s8
	s_add_u32 s2, s2, s10
	s_addc_u32 s3, s4, s11
	s_cmp_eq_u32 s9, 0
	s_cselect_b32 s4, 2, 1
	s_lshl_b64 s[2:3], s[2:3], s4
	s_add_u32 s2, s6, s2
	s_addc_u32 s3, s7, s3
	v_mov_b32_e32 v6, s3
	v_add_co_u32_e32 v2, vcc, s2, v2
	v_lshlrev_b64 v[0:1], 2, v[0:1]
	v_addc_co_u32_e32 v3, vcc, v6, v3, vcc
	s_ashr_i32 s7, s27, 31
	s_mov_b32 s6, s27
	v_add_co_u32_e32 v0, vcc, s2, v0
	v_addc_co_u32_e32 v1, vcc, v6, v1, vcc
	s_ashr_i32 s23, s22, 31
	s_lshl_b64 s[2:3], s[6:7], 2
	s_lshl_b64 s[6:7], s[6:7], 1
	v_cndmask_b32_e64 v6, 0, 1, s[0:1]
	s_lshl_b64 s[4:5], s[22:23], 2
	s_lshl_b64 s[8:9], s[22:23], 1
	v_cmp_ne_u32_e64 s[0:1], 1, v6
	s_movk_i32 s12, 0x7fff
	v_mov_b32_e32 v6, s3
	v_mov_b32_e32 v7, s7
	s_branch .LBB0_16
.LBB0_15:                               ;   in Loop: Header=BB0_16 Depth=1
	v_add_co_u32_e32 v0, vcc, s2, v0
	v_addc_co_u32_e32 v1, vcc, v1, v6, vcc
	s_add_i32 s26, s26, -1
	v_add_co_u32_e32 v2, vcc, s6, v2
	s_cmp_lg_u32 s26, 0
	v_addc_co_u32_e32 v3, vcc, v3, v7, vcc
	s_cbranch_scc0 .LBB0_20
.LBB0_16:                               ; =>This Inner Loop Header: Depth=1
	s_and_b64 vcc, exec, s[0:1]
	s_mov_b64 s[10:11], -1
	s_cbranch_vccnz .LBB0_18
; %bb.17:                               ;   in Loop: Header=BB0_16 Depth=1
	v_mov_b32_e32 v9, s9
	v_add_co_u32_e32 v8, vcc, s8, v2
	global_load_ushort v10, v[2:3], off
	v_addc_co_u32_e32 v9, vcc, v3, v9, vcc
	global_load_ushort v11, v[8:9], off
	s_mov_b64 s[10:11], 0
	s_waitcnt vmcnt(1)
	v_lshlrev_b32_e32 v10, 16, v10
	v_mul_f32_e32 v12, v4, v10
	s_waitcnt vmcnt(0)
	v_lshlrev_b32_e32 v11, 16, v11
	v_fma_f32 v12, -v11, v5, v12
	v_mul_f32_e32 v11, v4, v11
	v_fmac_f32_e32 v11, v10, v5
	v_bfe_u32 v10, v12, 16, 1
	v_or_b32_e32 v13, 0x400000, v12
	v_add3_u32 v10, v10, v12, s12
	v_bfe_u32 v14, v11, 16, 1
	v_cmp_u_f32_e32 vcc, v12, v12
	v_or_b32_e32 v15, 0x400000, v11
	v_cndmask_b32_e32 v10, v10, v13, vcc
	v_add3_u32 v12, v14, v11, s12
	v_cmp_u_f32_e32 vcc, v11, v11
	global_store_short_d16_hi v[2:3], v10, off
	v_cndmask_b32_e32 v10, v12, v15, vcc
	global_store_short_d16_hi v[8:9], v10, off
.LBB0_18:                               ;   in Loop: Header=BB0_16 Depth=1
	s_andn2_b64 vcc, exec, s[10:11]
	s_cbranch_vccnz .LBB0_15
; %bb.19:                               ;   in Loop: Header=BB0_16 Depth=1
	v_mov_b32_e32 v9, s5
	v_add_co_u32_e32 v8, vcc, s4, v0
	v_addc_co_u32_e32 v9, vcc, v1, v9, vcc
	global_load_dword v10, v[0:1], off
	global_load_dword v11, v[8:9], off
	s_waitcnt vmcnt(1)
	v_mul_f32_e32 v12, v4, v10
	s_waitcnt vmcnt(0)
	v_fma_f32 v12, -v11, v5, v12
	v_mul_f32_e32 v11, v4, v11
	v_fmac_f32_e32 v11, v10, v5
	global_store_dword v[0:1], v12, off
	global_store_dword v[8:9], v11, off
	s_branch .LBB0_15
.LBB0_20:
	s_endpgm
	.section	.rodata,"a",@progbits
	.p2align	6, 0x0
	.amdhsa_kernel _Z14rope_qk_kernelPfPviiiiiiiPKiiS2_xfffffPKxS2_S2_
		.amdhsa_group_segment_fixed_size 0
		.amdhsa_private_segment_fixed_size 0
		.amdhsa_kernarg_size 384
		.amdhsa_user_sgpr_count 6
		.amdhsa_user_sgpr_private_segment_buffer 1
		.amdhsa_user_sgpr_dispatch_ptr 0
		.amdhsa_user_sgpr_queue_ptr 0
		.amdhsa_user_sgpr_kernarg_segment_ptr 1
		.amdhsa_user_sgpr_dispatch_id 0
		.amdhsa_user_sgpr_flat_scratch_init 0
		.amdhsa_user_sgpr_private_segment_size 0
		.amdhsa_uses_dynamic_stack 0
		.amdhsa_system_sgpr_private_segment_wavefront_offset 0
		.amdhsa_system_sgpr_workgroup_id_x 1
		.amdhsa_system_sgpr_workgroup_id_y 1
		.amdhsa_system_sgpr_workgroup_id_z 0
		.amdhsa_system_sgpr_workgroup_info 0
		.amdhsa_system_vgpr_workitem_id 0
		.amdhsa_next_free_vgpr 21
		.amdhsa_next_free_sgpr 52
		.amdhsa_reserve_vcc 1
		.amdhsa_reserve_flat_scratch 0
		.amdhsa_float_round_mode_32 0
		.amdhsa_float_round_mode_16_64 0
		.amdhsa_float_denorm_mode_32 3
		.amdhsa_float_denorm_mode_16_64 3
		.amdhsa_dx10_clamp 1
		.amdhsa_ieee_mode 1
		.amdhsa_fp16_overflow 0
		.amdhsa_exception_fp_ieee_invalid_op 0
		.amdhsa_exception_fp_denorm_src 0
		.amdhsa_exception_fp_ieee_div_zero 0
		.amdhsa_exception_fp_ieee_overflow 0
		.amdhsa_exception_fp_ieee_underflow 0
		.amdhsa_exception_fp_ieee_inexact 0
		.amdhsa_exception_int_div_zero 0
	.end_amdhsa_kernel
	.text
.Lfunc_end0:
	.size	_Z14rope_qk_kernelPfPviiiiiiiPKiiS2_xfffffPKxS2_S2_, .Lfunc_end0-_Z14rope_qk_kernelPfPviiiiiiiPKiiS2_xfffffPKxS2_S2_
                                        ; -- End function
	.set _Z14rope_qk_kernelPfPviiiiiiiPKiiS2_xfffffPKxS2_S2_.num_vgpr, 21
	.set _Z14rope_qk_kernelPfPviiiiiiiPKiiS2_xfffffPKxS2_S2_.num_agpr, 0
	.set _Z14rope_qk_kernelPfPviiiiiiiPKiiS2_xfffffPKxS2_S2_.numbered_sgpr, 52
	.set _Z14rope_qk_kernelPfPviiiiiiiPKiiS2_xfffffPKxS2_S2_.num_named_barrier, 0
	.set _Z14rope_qk_kernelPfPviiiiiiiPKiiS2_xfffffPKxS2_S2_.private_seg_size, 0
	.set _Z14rope_qk_kernelPfPviiiiiiiPKiiS2_xfffffPKxS2_S2_.uses_vcc, 1
	.set _Z14rope_qk_kernelPfPviiiiiiiPKiiS2_xfffffPKxS2_S2_.uses_flat_scratch, 0
	.set _Z14rope_qk_kernelPfPviiiiiiiPKiiS2_xfffffPKxS2_S2_.has_dyn_sized_stack, 0
	.set _Z14rope_qk_kernelPfPviiiiiiiPKiiS2_xfffffPKxS2_S2_.has_recursion, 0
	.set _Z14rope_qk_kernelPfPviiiiiiiPKiiS2_xfffffPKxS2_S2_.has_indirect_call, 0
	.section	.AMDGPU.csdata,"",@progbits
; Kernel info:
; codeLenInByte = 4900
; TotalNumSgprs: 56
; NumVgprs: 21
; ScratchSize: 0
; MemoryBound: 0
; FloatMode: 240
; IeeeMode: 1
; LDSByteSize: 0 bytes/workgroup (compile time only)
; SGPRBlocks: 6
; VGPRBlocks: 5
; NumSGPRsForWavesPerEU: 56
; NumVGPRsForWavesPerEU: 21
; Occupancy: 10
; WaveLimiterHint : 0
; COMPUTE_PGM_RSRC2:SCRATCH_EN: 0
; COMPUTE_PGM_RSRC2:USER_SGPR: 6
; COMPUTE_PGM_RSRC2:TRAP_HANDLER: 0
; COMPUTE_PGM_RSRC2:TGID_X_EN: 1
; COMPUTE_PGM_RSRC2:TGID_Y_EN: 1
; COMPUTE_PGM_RSRC2:TGID_Z_EN: 0
; COMPUTE_PGM_RSRC2:TIDIG_COMP_CNT: 0
	.section	.AMDGPU.gpr_maximums,"",@progbits
	.set amdgpu.max_num_vgpr, 0
	.set amdgpu.max_num_agpr, 0
	.set amdgpu.max_num_sgpr, 0
	.section	.AMDGPU.csdata,"",@progbits
	.type	__hip_cuid_dcca03dcc0cd764f,@object ; @__hip_cuid_dcca03dcc0cd764f
	.section	.bss,"aw",@nobits
	.globl	__hip_cuid_dcca03dcc0cd764f
__hip_cuid_dcca03dcc0cd764f:
	.byte	0                               ; 0x0
	.size	__hip_cuid_dcca03dcc0cd764f, 1

	.ident	"AMD clang version 22.0.0git (https://github.com/RadeonOpenCompute/llvm-project roc-7.2.4 26084 f58b06dce1f9c15707c5f808fd002e18c2accf7e)"
	.section	".note.GNU-stack","",@progbits
	.addrsig
	.addrsig_sym __hip_cuid_dcca03dcc0cd764f
	.amdgpu_metadata
---
amdhsa.kernels:
  - .args:
      - .address_space:  global
        .offset:         0
        .size:           8
        .value_kind:     global_buffer
      - .address_space:  global
        .offset:         8
        .size:           8
        .value_kind:     global_buffer
      - .offset:         16
        .size:           4
        .value_kind:     by_value
      - .offset:         20
        .size:           4
        .value_kind:     by_value
      - .offset:         24
        .size:           4
        .value_kind:     by_value
      - .offset:         28
        .size:           4
        .value_kind:     by_value
      - .offset:         32
        .size:           4
        .value_kind:     by_value
      - .offset:         36
        .size:           4
        .value_kind:     by_value
      - .offset:         40
        .size:           4
        .value_kind:     by_value
      - .actual_access:  read_only
        .address_space:  global
        .offset:         48
        .size:           8
        .value_kind:     global_buffer
      - .offset:         56
        .size:           4
        .value_kind:     by_value
      - .actual_access:  read_only
        .address_space:  global
        .offset:         64
        .size:           8
        .value_kind:     global_buffer
      - .offset:         72
        .size:           8
        .value_kind:     by_value
      - .offset:         80
        .size:           4
        .value_kind:     by_value
      - .offset:         84
        .size:           4
        .value_kind:     by_value
      - .offset:         88
        .size:           4
        .value_kind:     by_value
      - .offset:         92
        .size:           4
        .value_kind:     by_value
      - .offset:         96
        .size:           4
        .value_kind:     by_value
      - .actual_access:  read_only
        .address_space:  global
        .offset:         104
        .size:           8
        .value_kind:     global_buffer
      - .actual_access:  read_only
        .address_space:  global
        .offset:         112
        .size:           8
        .value_kind:     global_buffer
      - .actual_access:  read_only
        .address_space:  global
        .offset:         120
        .size:           8
        .value_kind:     global_buffer
      - .offset:         128
        .size:           4
        .value_kind:     hidden_block_count_x
      - .offset:         132
        .size:           4
        .value_kind:     hidden_block_count_y
      - .offset:         136
        .size:           4
        .value_kind:     hidden_block_count_z
      - .offset:         140
        .size:           2
        .value_kind:     hidden_group_size_x
      - .offset:         142
        .size:           2
        .value_kind:     hidden_group_size_y
      - .offset:         144
        .size:           2
        .value_kind:     hidden_group_size_z
      - .offset:         146
        .size:           2
        .value_kind:     hidden_remainder_x
      - .offset:         148
        .size:           2
        .value_kind:     hidden_remainder_y
      - .offset:         150
        .size:           2
        .value_kind:     hidden_remainder_z
      - .offset:         168
        .size:           8
        .value_kind:     hidden_global_offset_x
      - .offset:         176
        .size:           8
        .value_kind:     hidden_global_offset_y
      - .offset:         184
        .size:           8
        .value_kind:     hidden_global_offset_z
      - .offset:         192
        .size:           2
        .value_kind:     hidden_grid_dims
    .group_segment_fixed_size: 0
    .kernarg_segment_align: 8
    .kernarg_segment_size: 384
    .language:       OpenCL C
    .language_version:
      - 2
      - 0
    .max_flat_workgroup_size: 1024
    .name:           _Z14rope_qk_kernelPfPviiiiiiiPKiiS2_xfffffPKxS2_S2_
    .private_segment_fixed_size: 0
    .sgpr_count:     56
    .sgpr_spill_count: 0
    .symbol:         _Z14rope_qk_kernelPfPviiiiiiiPKiiS2_xfffffPKxS2_S2_.kd
    .uniform_work_group_size: 1
    .uses_dynamic_stack: false
    .vgpr_count:     21
    .vgpr_spill_count: 0
    .wavefront_size: 64
amdhsa.target:   amdgcn-amd-amdhsa--gfx906
amdhsa.version:
  - 1
  - 2
...

	.end_amdgpu_metadata
